;; amdgpu-corpus repo=ROCm/composable_kernel kind=compiled arch=gfx906 opt=O3
	.amdgcn_target "amdgcn-amd-amdhsa--gfx906"
	.amdhsa_code_object_version 6
	.section	.text._ZN2ckL12flush_icacheEv,"axG",@progbits,_ZN2ckL12flush_icacheEv,comdat
	.globl	_ZN2ckL12flush_icacheEv         ; -- Begin function _ZN2ckL12flush_icacheEv
	.p2align	8
	.type	_ZN2ckL12flush_icacheEv,@function
_ZN2ckL12flush_icacheEv:                ; @_ZN2ckL12flush_icacheEv
; %bb.0:
	;;#ASMSTART
	s_icache_inv 
	s_nop 0 
	s_nop 0 
	;; [unrolled: 1-line block ×16, first 2 shown]
	
	;;#ASMEND
	s_endpgm
	.section	.rodata,"a",@progbits
	.p2align	6, 0x0
	.amdhsa_kernel _ZN2ckL12flush_icacheEv
		.amdhsa_group_segment_fixed_size 0
		.amdhsa_private_segment_fixed_size 0
		.amdhsa_kernarg_size 0
		.amdhsa_user_sgpr_count 4
		.amdhsa_user_sgpr_private_segment_buffer 1
		.amdhsa_user_sgpr_dispatch_ptr 0
		.amdhsa_user_sgpr_queue_ptr 0
		.amdhsa_user_sgpr_kernarg_segment_ptr 0
		.amdhsa_user_sgpr_dispatch_id 0
		.amdhsa_user_sgpr_flat_scratch_init 0
		.amdhsa_user_sgpr_private_segment_size 0
		.amdhsa_uses_dynamic_stack 0
		.amdhsa_system_sgpr_private_segment_wavefront_offset 0
		.amdhsa_system_sgpr_workgroup_id_x 1
		.amdhsa_system_sgpr_workgroup_id_y 0
		.amdhsa_system_sgpr_workgroup_id_z 0
		.amdhsa_system_sgpr_workgroup_info 0
		.amdhsa_system_vgpr_workitem_id 0
		.amdhsa_next_free_vgpr 1
		.amdhsa_next_free_sgpr 0
		.amdhsa_reserve_vcc 0
		.amdhsa_reserve_flat_scratch 0
		.amdhsa_float_round_mode_32 0
		.amdhsa_float_round_mode_16_64 0
		.amdhsa_float_denorm_mode_32 3
		.amdhsa_float_denorm_mode_16_64 3
		.amdhsa_dx10_clamp 1
		.amdhsa_ieee_mode 1
		.amdhsa_fp16_overflow 0
		.amdhsa_exception_fp_ieee_invalid_op 0
		.amdhsa_exception_fp_denorm_src 0
		.amdhsa_exception_fp_ieee_div_zero 0
		.amdhsa_exception_fp_ieee_overflow 0
		.amdhsa_exception_fp_ieee_underflow 0
		.amdhsa_exception_fp_ieee_inexact 0
		.amdhsa_exception_int_div_zero 0
	.end_amdhsa_kernel
	.section	.text._ZN2ckL12flush_icacheEv,"axG",@progbits,_ZN2ckL12flush_icacheEv,comdat
.Lfunc_end0:
	.size	_ZN2ckL12flush_icacheEv, .Lfunc_end0-_ZN2ckL12flush_icacheEv
                                        ; -- End function
	.set _ZN2ckL12flush_icacheEv.num_vgpr, 0
	.set _ZN2ckL12flush_icacheEv.num_agpr, 0
	.set _ZN2ckL12flush_icacheEv.numbered_sgpr, 0
	.set _ZN2ckL12flush_icacheEv.num_named_barrier, 0
	.set _ZN2ckL12flush_icacheEv.private_seg_size, 0
	.set _ZN2ckL12flush_icacheEv.uses_vcc, 0
	.set _ZN2ckL12flush_icacheEv.uses_flat_scratch, 0
	.set _ZN2ckL12flush_icacheEv.has_dyn_sized_stack, 0
	.set _ZN2ckL12flush_icacheEv.has_recursion, 0
	.set _ZN2ckL12flush_icacheEv.has_indirect_call, 0
	.section	.AMDGPU.csdata,"",@progbits
; Kernel info:
; codeLenInByte = 140
; TotalNumSgprs: 4
; NumVgprs: 0
; ScratchSize: 0
; MemoryBound: 0
; FloatMode: 240
; IeeeMode: 1
; LDSByteSize: 0 bytes/workgroup (compile time only)
; SGPRBlocks: 0
; VGPRBlocks: 0
; NumSGPRsForWavesPerEU: 4
; NumVGPRsForWavesPerEU: 1
; Occupancy: 10
; WaveLimiterHint : 0
; COMPUTE_PGM_RSRC2:SCRATCH_EN: 0
; COMPUTE_PGM_RSRC2:USER_SGPR: 4
; COMPUTE_PGM_RSRC2:TRAP_HANDLER: 0
; COMPUTE_PGM_RSRC2:TGID_X_EN: 1
; COMPUTE_PGM_RSRC2:TGID_Y_EN: 0
; COMPUTE_PGM_RSRC2:TGID_Z_EN: 0
; COMPUTE_PGM_RSRC2:TIDIG_COMP_CNT: 0
	.section	.text._Z23DeviceImageToColumnPad0IN2ck7wrapper6TensorILNS0_16AddressSpaceEnumE1EKfNS0_5TupleIJNS5_IJiNS5_IJiiiiEEEEEES6_EEENS0_16TensorDescriptorINS5_IJNS0_5EmbedINS5_IJiiiiiiiiiEEESB_Lb0EEEEEENS5_IJNS0_8SequenceIJLi0EEEEEEENS5_IJNSE_IJLi1ELi2ELi3ELi4ELi5ELi6ELi7ELi8ELi9EEEEEEESH_lEEEENS2_ILS3_1EfS8_SJ_EEKNS5_IJNS0_17integral_constantIiLi32EEENSM_IiLi64EEEEEEKNS1_6LayoutINS5_IJNSM_IiLi8EEENSM_IiLi16EEEEEENS9_INS5_IJNSA_ISU_NS5_IJST_NSM_IiLi1EEEEEELb0EEEEEESG_NS5_IJNSE_IJLi1ELi2EEEEEEESZ_NSM_IlLl128EEEEEEEEvT_T0_T1_T2_,"axG",@progbits,_Z23DeviceImageToColumnPad0IN2ck7wrapper6TensorILNS0_16AddressSpaceEnumE1EKfNS0_5TupleIJNS5_IJiNS5_IJiiiiEEEEEES6_EEENS0_16TensorDescriptorINS5_IJNS0_5EmbedINS5_IJiiiiiiiiiEEESB_Lb0EEEEEENS5_IJNS0_8SequenceIJLi0EEEEEEENS5_IJNSE_IJLi1ELi2ELi3ELi4ELi5ELi6ELi7ELi8ELi9EEEEEEESH_lEEEENS2_ILS3_1EfS8_SJ_EEKNS5_IJNS0_17integral_constantIiLi32EEENSM_IiLi64EEEEEEKNS1_6LayoutINS5_IJNSM_IiLi8EEENSM_IiLi16EEEEEENS9_INS5_IJNSA_ISU_NS5_IJST_NSM_IiLi1EEEEEELb0EEEEEESG_NS5_IJNSE_IJLi1ELi2EEEEEEESZ_NSM_IlLl128EEEEEEEEvT_T0_T1_T2_,comdat
	.protected	_Z23DeviceImageToColumnPad0IN2ck7wrapper6TensorILNS0_16AddressSpaceEnumE1EKfNS0_5TupleIJNS5_IJiNS5_IJiiiiEEEEEES6_EEENS0_16TensorDescriptorINS5_IJNS0_5EmbedINS5_IJiiiiiiiiiEEESB_Lb0EEEEEENS5_IJNS0_8SequenceIJLi0EEEEEEENS5_IJNSE_IJLi1ELi2ELi3ELi4ELi5ELi6ELi7ELi8ELi9EEEEEEESH_lEEEENS2_ILS3_1EfS8_SJ_EEKNS5_IJNS0_17integral_constantIiLi32EEENSM_IiLi64EEEEEEKNS1_6LayoutINS5_IJNSM_IiLi8EEENSM_IiLi16EEEEEENS9_INS5_IJNSA_ISU_NS5_IJST_NSM_IiLi1EEEEEELb0EEEEEESG_NS5_IJNSE_IJLi1ELi2EEEEEEESZ_NSM_IlLl128EEEEEEEEvT_T0_T1_T2_ ; -- Begin function _Z23DeviceImageToColumnPad0IN2ck7wrapper6TensorILNS0_16AddressSpaceEnumE1EKfNS0_5TupleIJNS5_IJiNS5_IJiiiiEEEEEES6_EEENS0_16TensorDescriptorINS5_IJNS0_5EmbedINS5_IJiiiiiiiiiEEESB_Lb0EEEEEENS5_IJNS0_8SequenceIJLi0EEEEEEENS5_IJNSE_IJLi1ELi2ELi3ELi4ELi5ELi6ELi7ELi8ELi9EEEEEEESH_lEEEENS2_ILS3_1EfS8_SJ_EEKNS5_IJNS0_17integral_constantIiLi32EEENSM_IiLi64EEEEEEKNS1_6LayoutINS5_IJNSM_IiLi8EEENSM_IiLi16EEEEEENS9_INS5_IJNSA_ISU_NS5_IJST_NSM_IiLi1EEEEEELb0EEEEEESG_NS5_IJNSE_IJLi1ELi2EEEEEEESZ_NSM_IlLl128EEEEEEEEvT_T0_T1_T2_
	.globl	_Z23DeviceImageToColumnPad0IN2ck7wrapper6TensorILNS0_16AddressSpaceEnumE1EKfNS0_5TupleIJNS5_IJiNS5_IJiiiiEEEEEES6_EEENS0_16TensorDescriptorINS5_IJNS0_5EmbedINS5_IJiiiiiiiiiEEESB_Lb0EEEEEENS5_IJNS0_8SequenceIJLi0EEEEEEENS5_IJNSE_IJLi1ELi2ELi3ELi4ELi5ELi6ELi7ELi8ELi9EEEEEEESH_lEEEENS2_ILS3_1EfS8_SJ_EEKNS5_IJNS0_17integral_constantIiLi32EEENSM_IiLi64EEEEEEKNS1_6LayoutINS5_IJNSM_IiLi8EEENSM_IiLi16EEEEEENS9_INS5_IJNSA_ISU_NS5_IJST_NSM_IiLi1EEEEEELb0EEEEEESG_NS5_IJNSE_IJLi1ELi2EEEEEEESZ_NSM_IlLl128EEEEEEEEvT_T0_T1_T2_
	.p2align	8
	.type	_Z23DeviceImageToColumnPad0IN2ck7wrapper6TensorILNS0_16AddressSpaceEnumE1EKfNS0_5TupleIJNS5_IJiNS5_IJiiiiEEEEEES6_EEENS0_16TensorDescriptorINS5_IJNS0_5EmbedINS5_IJiiiiiiiiiEEESB_Lb0EEEEEENS5_IJNS0_8SequenceIJLi0EEEEEEENS5_IJNSE_IJLi1ELi2ELi3ELi4ELi5ELi6ELi7ELi8ELi9EEEEEEESH_lEEEENS2_ILS3_1EfS8_SJ_EEKNS5_IJNS0_17integral_constantIiLi32EEENSM_IiLi64EEEEEEKNS1_6LayoutINS5_IJNSM_IiLi8EEENSM_IiLi16EEEEEENS9_INS5_IJNSA_ISU_NS5_IJST_NSM_IiLi1EEEEEELb0EEEEEESG_NS5_IJNSE_IJLi1ELi2EEEEEEESZ_NSM_IlLl128EEEEEEEEvT_T0_T1_T2_,@function
_Z23DeviceImageToColumnPad0IN2ck7wrapper6TensorILNS0_16AddressSpaceEnumE1EKfNS0_5TupleIJNS5_IJiNS5_IJiiiiEEEEEES6_EEENS0_16TensorDescriptorINS5_IJNS0_5EmbedINS5_IJiiiiiiiiiEEESB_Lb0EEEEEENS5_IJNS0_8SequenceIJLi0EEEEEEENS5_IJNSE_IJLi1ELi2ELi3ELi4ELi5ELi6ELi7ELi8ELi9EEEEEEESH_lEEEENS2_ILS3_1EfS8_SJ_EEKNS5_IJNS0_17integral_constantIiLi32EEENSM_IiLi64EEEEEEKNS1_6LayoutINS5_IJNSM_IiLi8EEENSM_IiLi16EEEEEENS9_INS5_IJNSA_ISU_NS5_IJST_NSM_IiLi1EEEEEELb0EEEEEESG_NS5_IJNSE_IJLi1ELi2EEEEEEESZ_NSM_IlLl128EEEEEEEEvT_T0_T1_T2_: ; @_Z23DeviceImageToColumnPad0IN2ck7wrapper6TensorILNS0_16AddressSpaceEnumE1EKfNS0_5TupleIJNS5_IJiNS5_IJiiiiEEEEEES6_EEENS0_16TensorDescriptorINS5_IJNS0_5EmbedINS5_IJiiiiiiiiiEEESB_Lb0EEEEEENS5_IJNS0_8SequenceIJLi0EEEEEEENS5_IJNSE_IJLi1ELi2ELi3ELi4ELi5ELi6ELi7ELi8ELi9EEEEEEESH_lEEEENS2_ILS3_1EfS8_SJ_EEKNS5_IJNS0_17integral_constantIiLi32EEENSM_IiLi64EEEEEEKNS1_6LayoutINS5_IJNSM_IiLi8EEENSM_IiLi16EEEEEENS9_INS5_IJNSA_ISU_NS5_IJST_NSM_IiLi1EEEEEELb0EEEEEESG_NS5_IJNSE_IJLi1ELi2EEEEEEESZ_NSM_IlLl128EEEEEEEEvT_T0_T1_T2_
; %bb.0:
	s_load_dwordx8 s[8:15], s[4:5], 0x1e8
	s_load_dword s2, s[4:5], 0x208
	s_load_dwordx8 s[24:31], s[4:5], 0x3e4
	s_load_dwordx2 s[36:37], s[4:5], 0x448
	s_waitcnt lgkmcnt(0)
	s_mul_i32 s0, s9, s8
	s_mul_i32 s0, s0, s10
	;; [unrolled: 1-line block ×7, first 2 shown]
	s_add_i32 s2, s2, 63
	s_ashr_i32 s8, s2, 31
	s_lshr_b32 s8, s8, 26
	s_add_i32 s3, s3, 31
	s_add_i32 s2, s2, s8
	s_ashr_i32 s8, s3, 31
	s_lshr_b32 s8, s8, 27
	s_add_i32 s3, s3, s8
	s_ashr_i32 s2, s2, 6
	s_ashr_i32 s3, s3, 5
	s_mul_i32 s8, s2, s3
	s_abs_i32 s8, s8
	v_cvt_f32_u32_e32 v1, s8
	s_sub_i32 s11, 0, s8
	s_mul_i32 s9, s2, s7
	s_add_i32 s9, s9, s6
	v_rcp_iflag_f32_e32 v1, v1
	s_ashr_i32 s10, s9, 31
	s_abs_i32 s9, s9
	s_load_dwordx2 s[0:1], s[4:5], 0x210
	v_mul_f32_e32 v1, 0x4f7ffffe, v1
	v_cvt_u32_f32_e32 v1, v1
	v_readfirstlane_b32 s12, v1
	s_mul_i32 s11, s11, s12
	s_mul_hi_u32 s11, s12, s11
	s_add_i32 s12, s12, s11
	s_mul_hi_u32 s11, s9, s12
	s_mul_i32 s11, s11, s8
	s_sub_i32 s9, s9, s11
	s_sub_i32 s11, s9, s8
	s_cmp_ge_u32 s9, s8
	s_cselect_b32 s9, s11, s9
	s_sub_i32 s11, s9, s8
	s_cmp_ge_u32 s9, s8
	s_cselect_b32 s8, s11, s9
	s_abs_i32 s9, s2
	v_cvt_f32_u32_e32 v1, s9
	s_sub_i32 s12, 0, s9
	s_xor_b32 s8, s8, s10
	s_sub_i32 s8, s8, s10
	v_rcp_iflag_f32_e32 v1, v1
	s_abs_i32 s11, s8
	s_xor_b32 s10, s8, s2
	s_ashr_i32 s10, s10, 31
	v_mul_f32_e32 v1, 0x4f7ffffe, v1
	v_cvt_u32_f32_e32 v1, v1
	v_readfirstlane_b32 s13, v1
	s_mul_i32 s12, s12, s13
	s_mul_hi_u32 s12, s13, s12
	s_add_i32 s13, s13, s12
	s_mul_hi_u32 s12, s11, s13
	s_mul_i32 s13, s12, s9
	s_sub_i32 s11, s11, s13
	s_add_i32 s13, s12, 1
	s_sub_i32 s14, s11, s9
	s_cmp_ge_u32 s11, s9
	s_cselect_b32 s12, s13, s12
	s_cselect_b32 s11, s14, s11
	s_add_i32 s13, s12, 1
	s_cmp_ge_u32 s11, s9
	s_cselect_b32 s9, s13, s12
	s_xor_b32 s9, s9, s10
	s_sub_i32 s9, s9, s10
	s_lshr_b32 s10, s3, 29
	s_add_i32 s10, s3, s10
	s_and_b32 s10, s10, -8
	s_sub_i32 s3, s3, s10
	s_cmp_ge_i32 s9, s10
	s_cselect_b32 s3, s3, 8
	s_abs_i32 s16, s3
	v_cvt_f32_u32_e32 v1, s16
	s_mul_i32 s10, s9, s2
	s_sub_i32 s8, s8, s10
	s_ashr_i32 s10, s9, 31
	v_rcp_iflag_f32_e32 v1, v1
	s_lshr_b32 s10, s10, 29
	s_add_i32 s10, s9, s10
	s_and_b32 s17, s10, -8
	v_mul_f32_e32 v1, 0x4f7ffffe, v1
	v_cvt_u32_f32_e32 v1, v1
	s_sub_i32 s9, s9, s17
	s_mul_i32 s2, s2, s9
	s_sub_i32 s9, 0, s16
	v_readfirstlane_b32 s10, v1
	s_add_i32 s2, s2, s8
	s_mul_i32 s9, s9, s10
	s_xor_b32 s8, s2, s3
	s_mul_hi_u32 s9, s10, s9
	s_ashr_i32 s18, s8, 31
	s_abs_i32 s8, s2
	s_add_i32 s10, s10, s9
	s_mul_hi_u32 s9, s8, s10
	s_mul_i32 s10, s9, s16
	s_sub_i32 s8, s8, s10
	s_add_i32 s10, s9, 1
	s_sub_i32 s11, s8, s16
	s_cmp_ge_u32 s8, s16
	s_cselect_b32 s19, s10, s9
	s_cselect_b32 s20, s11, s8
	s_add_i32 s21, s19, 1
	s_load_dwordx8 s[8:15], s[4:5], 0x420
	s_cmp_ge_u32 s20, s16
	s_cselect_b32 s16, s21, s19
	s_load_dword s19, s[4:5], 0x440
	s_xor_b32 s16, s16, s18
	s_waitcnt lgkmcnt(0)
	s_mul_i32 s8, s9, s8
	s_mul_i32 s9, s14, s13
	;; [unrolled: 1-line block ×6, first 2 shown]
	s_add_i32 s9, s9, 63
	s_mul_i32 s8, s8, s12
	s_ashr_i32 s10, s9, 31
	s_lshr_b32 s10, s10, 26
	s_add_i32 s8, s8, 31
	s_add_i32 s9, s9, s10
	s_ashr_i32 s10, s8, 31
	s_lshr_b32 s10, s10, 27
	s_add_i32 s8, s8, s10
	s_ashr_i32 s9, s9, 6
	s_ashr_i32 s8, s8, 5
	s_mul_i32 s10, s9, s8
	s_abs_i32 s10, s10
	v_cvt_f32_u32_e32 v1, s10
	s_sub_i32 s11, s16, s18
	s_mul_i32 s3, s11, s3
	s_sub_i32 s2, s2, s3
	v_rcp_iflag_f32_e32 v1, v1
	s_add_i32 s17, s17, s2
	s_mul_i32 s2, s9, s7
	s_add_i32 s2, s2, s6
	v_mul_f32_e32 v1, 0x4f7ffffe, v1
	v_cvt_u32_f32_e32 v1, v1
	s_sub_i32 s6, 0, s10
	s_ashr_i32 s3, s2, 31
	s_abs_i32 s2, s2
	v_readfirstlane_b32 s7, v1
	s_mul_i32 s6, s6, s7
	s_mul_hi_u32 s6, s7, s6
	s_add_i32 s7, s7, s6
	s_mul_hi_u32 s6, s2, s7
	s_mul_i32 s6, s6, s10
	s_sub_i32 s2, s2, s6
	s_sub_i32 s6, s2, s10
	s_cmp_ge_u32 s2, s10
	s_cselect_b32 s2, s6, s2
	s_sub_i32 s6, s2, s10
	s_cmp_ge_u32 s2, s10
	s_cselect_b32 s2, s6, s2
	s_abs_i32 s6, s9
	v_cvt_f32_u32_e32 v1, s6
	s_sub_i32 s10, 0, s6
	s_xor_b32 s2, s2, s3
	s_sub_i32 s2, s2, s3
	v_rcp_iflag_f32_e32 v1, v1
	s_abs_i32 s7, s2
	s_xor_b32 s3, s2, s9
	s_ashr_i32 s3, s3, 31
	v_mul_f32_e32 v1, 0x4f7ffffe, v1
	v_cvt_u32_f32_e32 v1, v1
	v_readfirstlane_b32 s12, v1
	s_mul_i32 s10, s10, s12
	s_mul_hi_u32 s10, s12, s10
	s_add_i32 s12, s12, s10
	s_mul_hi_u32 s10, s7, s12
	s_mul_i32 s12, s10, s6
	s_sub_i32 s7, s7, s12
	s_add_i32 s12, s10, 1
	s_sub_i32 s13, s7, s6
	s_cmp_ge_u32 s7, s6
	s_cselect_b32 s10, s12, s10
	s_cselect_b32 s7, s13, s7
	s_add_i32 s12, s10, 1
	s_cmp_ge_u32 s7, s6
	s_cselect_b32 s6, s12, s10
	s_xor_b32 s6, s6, s3
	s_sub_i32 s3, s6, s3
	s_lshr_b32 s6, s8, 29
	s_add_i32 s6, s8, s6
	s_and_b32 s6, s6, -8
	s_sub_i32 s7, s8, s6
	s_cmp_ge_i32 s3, s6
	s_cselect_b32 s6, s7, 8
	s_abs_i32 s8, s6
	v_cvt_f32_u32_e32 v1, s8
	s_mul_i32 s7, s3, s9
	s_sub_i32 s2, s2, s7
	s_ashr_i32 s7, s3, 31
	v_rcp_iflag_f32_e32 v1, v1
	s_lshr_b32 s7, s7, 29
	s_add_i32 s7, s3, s7
	s_and_b32 s7, s7, -8
	v_mul_f32_e32 v1, 0x4f7ffffe, v1
	v_cvt_u32_f32_e32 v1, v1
	s_sub_i32 s3, s3, s7
	s_sub_i32 s10, 0, s8
	s_mul_i32 s3, s9, s3
	v_readfirstlane_b32 s12, v1
	s_mul_i32 s10, s10, s12
	s_add_i32 s3, s3, s2
	s_mul_hi_u32 s10, s12, s10
	s_abs_i32 s9, s3
	s_add_i32 s12, s12, s10
	s_mul_hi_u32 s10, s9, s12
	s_mul_i32 s12, s10, s8
	s_xor_b32 s2, s3, s6
	s_sub_i32 s9, s9, s12
	s_ashr_i32 s2, s2, 31
	s_add_i32 s12, s10, 1
	s_sub_i32 s13, s9, s8
	s_cmp_ge_u32 s9, s8
	s_cselect_b32 s10, s12, s10
	s_cselect_b32 s9, s13, s9
	s_add_i32 s12, s10, 1
	s_cmp_ge_u32 s9, s8
	s_cselect_b32 s8, s12, s10
	s_xor_b32 s8, s8, s2
	s_sub_i32 s2, s8, s2
	s_mul_i32 s6, s2, s6
	v_lshrrev_b32_e32 v1, 2, v0
	v_lshlrev_b32_e32 v0, 2, v0
	s_sub_i32 s3, s3, s6
	v_and_b32_e32 v2, 28, v1
	v_and_b32_e32 v3, 60, v0
	s_add_i32 s7, s7, s3
	v_lshl_or_b32 v1, s17, 5, v2
	v_lshl_or_b32 v4, s11, 6, v3
	s_load_dwordx8 s[16:23], s[4:5], 0x1ac
	s_load_dwordx8 s[8:15], s[4:5], 0x144
	s_load_dword s3, s[4:5], 0x164
	s_load_dwordx4 s[40:43], s[4:5], 0x16c
	s_load_dwordx4 s[52:55], s[4:5], 0x1cc
	;; [unrolled: 1-line block ×4, first 2 shown]
	s_load_dword s6, s[4:5], 0x1e0
	s_waitcnt lgkmcnt(0)
	v_mul_hi_u32 v0, s22, v4
	s_and_b32 s1, s1, 0xffff
	v_mul_hi_u32 v11, s51, v1
	s_and_b32 s37, s37, 0xffff
	v_add_u32_e32 v0, v4, v0
	v_lshrrev_b32_e32 v5, s54, v0
	v_add_u32_e32 v11, v1, v11
	v_lshrrev_b32_e32 v11, s47, v11
	v_mul_hi_u32 v6, v5, s21
	v_mul_hi_u32 v14, v11, s50
	v_lshl_or_b32 v0, s7, 5, v2
	v_lshl_or_b32 v2, s2, 6, v3
	v_add_u32_e32 v3, v5, v6
	v_add_u32_e32 v14, v11, v14
	v_lshrrev_b32_e32 v3, s53, v3
	v_mul_hi_u32 v9, s30, v2
	v_lshrrev_b32_e32 v14, s46, v14
	v_mul_hi_u32 v6, v3, s20
	s_load_dwordx4 s[56:59], s[4:5], 0x404
	s_load_dword s7, s[4:5], 0x418
	v_mul_lo_u32 v7, v5, s18
	v_mul_hi_u32 v15, v14, s49
	v_mul_lo_u32 v8, v3, s17
	v_add_u32_e32 v9, v2, v9
	v_add_u32_e32 v6, v3, v6
	s_waitcnt lgkmcnt(0)
	v_lshrrev_b32_e32 v9, s58, v9
	v_sub_u32_e32 v4, v4, v7
	v_add_u32_e32 v7, v14, v15
	v_lshrrev_b32_e32 v6, s52, v6
	v_mul_hi_u32 v12, v9, s29
	v_lshrrev_b32_e32 v7, s45, v7
	v_mul_lo_u32 v10, v6, s16
	v_sub_u32_e32 v5, v5, v8
	v_mul_hi_u32 v8, v7, s48
	v_add_u32_e32 v12, v9, v12
	v_lshrrev_b32_e32 v12, s57, v12
	v_sub_u32_e32 v3, v3, v10
	v_mul_lo_u32 v10, v11, s43
	v_mul_lo_u32 v15, v14, s42
	v_add_u32_e32 v8, v7, v8
	v_mul_hi_u32 v13, v12, s28
	v_mul_lo_u32 v16, v7, s41
	v_lshrrev_b32_e32 v8, s44, v8
	v_mul_lo_u32 v17, v8, s40
	v_sub_u32_e32 v10, v1, v10
	v_sub_u32_e32 v11, v11, v15
	v_add_u32_e32 v13, v12, v13
	v_sub_u32_e32 v14, v14, v16
	v_mul_lo_u32 v15, v10, s8
	v_mul_lo_u32 v16, v11, s9
	;; [unrolled: 1-line block ×3, first 2 shown]
	s_load_dwordx8 s[16:23], s[4:5], 0x37c
	s_load_dwordx4 s[52:55], s[4:5], 0x3a4
	v_lshrrev_b32_e32 v13, s56, v13
	s_load_dwordx4 s[56:59], s[4:5], 0x3b8
	s_load_dwordx4 s[28:31], s[4:5], 0x3cc
	v_sub_u32_e32 v7, v7, v17
	v_mul_lo_u32 v17, v14, s10
	v_mul_lo_u32 v5, v5, s14
	v_add3_u32 v4, v16, v15, v4
	v_mul_lo_u32 v18, v7, s11
	v_mul_lo_u32 v19, v8, s12
	v_add3_u32 v4, v4, v17, v5
	s_waitcnt lgkmcnt(0)
	v_mul_hi_u32 v5, s59, v0
	v_mul_lo_u32 v6, v6, s3
	v_mul_lo_u32 v3, v3, s15
	v_add3_u32 v4, v4, v19, v18
	v_add_u32_e32 v5, v0, v5
	v_lshrrev_b32_e32 v5, s31, v5
	v_add3_u32 v6, v4, v6, v3
	v_mul_lo_u32 v3, v9, s26
	v_mul_lo_u32 v4, v12, s25
	v_mul_hi_u32 v15, v5, s58
	s_lshl_b32 s2, s6, 2
	v_sub_u32_e32 v2, v2, v3
	v_sub_u32_e32 v3, v9, v4
	v_add_u32_e32 v9, v5, v15
	v_lshrrev_b32_e32 v9, s30, v9
	v_mul_hi_u32 v15, v9, s57
	v_mul_lo_u32 v4, v13, s24
	v_mul_lo_u32 v16, v9, s54
	;; [unrolled: 1-line block ×3, first 2 shown]
	v_add_u32_e32 v15, v9, v15
	v_lshrrev_b32_e32 v15, s29, v15
	v_sub_u32_e32 v12, v12, v4
	v_mul_lo_u32 v4, v5, s55
	v_mul_hi_u32 v18, v15, s56
	v_mul_lo_u32 v17, v15, s53
	v_sub_u32_e32 v16, v5, v16
	v_sub_u32_e32 v19, v0, v4
	v_add_u32_e32 v4, v15, v18
	v_sub_u32_e32 v9, v9, v17
	v_lshrrev_b32_e32 v17, s28, v4
	v_mul_lo_u32 v4, v17, s52
	v_mul_lo_u32 v5, v19, s16
	;; [unrolled: 1-line block ×4, first 2 shown]
	v_sub_u32_e32 v15, v15, v4
	v_mul_lo_u32 v4, v9, s18
	v_add3_u32 v2, v18, v5, v2
	v_mul_lo_u32 v5, v15, s19
	v_mul_lo_u32 v18, v17, s20
	v_add3_u32 v2, v2, v4, v3
	s_mov_b32 s3, 0x20000
	s_load_dword s4, s[4:5], 0x39c
	v_add3_u32 v18, v2, v18, v5
	v_lshlrev_b32_e32 v2, 2, v6
	buffer_load_dwordx4 v[2:5], v2, s[0:3], 0 offen
	v_mul_lo_u32 v12, v12, s23
	s_waitcnt lgkmcnt(0)
	v_mul_lo_u32 v13, v13, s4
	s_lshl_b32 s38, s7, 2
	s_mov_b32 s39, s3
	v_add3_u32 v12, v18, v13, v12
	v_lshlrev_b32_e32 v13, 2, v12
	s_waitcnt vmcnt(0)
	buffer_store_dwordx4 v[2:5], v13, s[36:39], 0 offen
	s_nop 0
	v_or_b32_e32 v2, 1, v1
	v_mul_hi_u32 v3, s51, v2
	v_add_u32_e32 v3, v2, v3
	v_lshrrev_b32_e32 v3, s47, v3
	v_mul_hi_u32 v4, v3, s50
	v_mul_lo_u32 v5, v3, s43
	v_add_u32_e32 v4, v3, v4
	v_lshrrev_b32_e32 v4, s46, v4
	v_mul_hi_u32 v13, v4, s49
	v_sub_u32_e32 v18, v2, v5
	v_mul_lo_u32 v5, v4, s42
	v_sub_u32_e32 v2, v18, v10
	v_add_u32_e32 v10, v4, v13
	v_lshrrev_b32_e32 v10, s45, v10
	v_sub_u32_e32 v20, v3, v5
	v_mul_hi_u32 v3, v10, s48
	v_mul_lo_u32 v13, v10, s41
	v_mul_lo_u32 v2, v2, s8
	v_sub_u32_e32 v5, v20, v11
	v_add_u32_e32 v3, v10, v3
	v_sub_u32_e32 v11, v4, v13
	v_lshrrev_b32_e32 v13, s44, v3
	v_sub_u32_e32 v4, v11, v14
	v_sub_u32_e32 v3, v13, v8
	v_mul_lo_u32 v4, v4, s10
	v_mul_lo_u32 v8, v3, s12
	v_mad_u64_u32 v[2:3], s[4:5], v5, s9, v[2:3]
	v_mul_lo_u32 v3, v13, s40
	v_add3_u32 v2, v2, v4, v8
	v_or_b32_e32 v4, 1, v0
	v_mul_hi_u32 v5, s59, v4
	v_sub_u32_e32 v14, v10, v3
	v_sub_u32_e32 v3, v14, v7
	v_mul_lo_u32 v3, v3, s11
	v_add_u32_e32 v5, v4, v5
	v_lshrrev_b32_e32 v5, s31, v5
	v_mul_hi_u32 v7, v5, s58
	v_add3_u32 v21, v2, v3, v6
	v_mul_lo_u32 v2, v5, s55
	v_add_u32_e32 v3, v5, v7
	v_lshrrev_b32_e32 v3, s30, v3
	v_mul_hi_u32 v6, v3, s57
	v_sub_u32_e32 v10, v4, v2
	v_mul_lo_u32 v4, v3, s54
	v_sub_u32_e32 v2, v10, v19
	v_add_u32_e32 v6, v3, v6
	v_lshrrev_b32_e32 v6, s29, v6
	v_mul_lo_u32 v7, v6, s53
	v_sub_u32_e32 v19, v5, v4
	v_mul_hi_u32 v5, v6, s56
	v_mul_lo_u32 v2, v2, s16
	v_sub_u32_e32 v4, v19, v16
	v_sub_u32_e32 v16, v3, v7
	v_add_u32_e32 v3, v6, v5
	v_lshrrev_b32_e32 v22, s28, v3
	v_sub_u32_e32 v7, v16, v9
	v_mad_u64_u32 v[2:3], s[4:5], v4, s17, v[2:3]
	v_sub_u32_e32 v4, v22, v17
	v_mul_lo_u32 v3, v22, s52
	v_mul_lo_u32 v5, v7, s18
	;; [unrolled: 1-line block ×3, first 2 shown]
	v_sub_u32_e32 v17, v6, v3
	v_sub_u32_e32 v7, v17, v15
	v_add3_u32 v6, v2, v5, v4
	v_lshlrev_b32_e32 v2, 2, v21
	buffer_load_dwordx4 v[2:5], v2, s[0:3], 0 offen
	v_mul_lo_u32 v7, v7, s19
	v_add3_u32 v15, v6, v7, v12
	v_lshlrev_b32_e32 v6, 2, v15
	s_waitcnt vmcnt(0)
	buffer_store_dwordx4 v[2:5], v6, s[36:39], 0 offen
	s_nop 0
	v_or_b32_e32 v2, 2, v1
	v_mul_hi_u32 v3, s51, v2
	v_add_u32_e32 v3, v2, v3
	v_lshrrev_b32_e32 v3, s47, v3
	v_mul_hi_u32 v4, v3, s50
	v_mul_lo_u32 v5, v3, s43
	v_add_u32_e32 v4, v3, v4
	v_lshrrev_b32_e32 v4, s46, v4
	v_mul_lo_u32 v7, v4, s42
	v_sub_u32_e32 v6, v2, v5
	v_sub_u32_e32 v2, v6, v18
	v_mul_lo_u32 v2, v2, s8
	v_sub_u32_e32 v7, v3, v7
	v_sub_u32_e32 v3, v7, v20
	v_mad_u64_u32 v[2:3], s[4:5], v3, s9, v[2:3]
	v_mul_hi_u32 v3, v4, s49
	v_add_u32_e32 v3, v4, v3
	v_lshrrev_b32_e32 v5, s45, v3
	v_mul_lo_u32 v3, v5, s41
	v_sub_u32_e32 v8, v4, v3
	v_mul_hi_u32 v4, v5, s48
	v_sub_u32_e32 v3, v8, v11
	v_mul_lo_u32 v3, v3, s10
	v_add_u32_e32 v4, v5, v4
	v_lshrrev_b32_e32 v18, s44, v4
	v_sub_u32_e32 v4, v18, v13
	v_mul_lo_u32 v4, v4, s12
	v_add3_u32 v4, v2, v3, v4
	v_or_b32_e32 v2, 2, v0
	v_mul_hi_u32 v3, s59, v2
	v_or_b32_e32 v0, 3, v0
	v_add_u32_e32 v3, v2, v3
	v_lshrrev_b32_e32 v3, s31, v3
	v_mul_lo_u32 v9, v3, s55
	v_sub_u32_e32 v9, v2, v9
	v_sub_u32_e32 v2, v9, v10
	v_mul_hi_u32 v10, v3, s58
	v_mul_lo_u32 v2, v2, s16
	v_add_u32_e32 v10, v3, v10
	v_lshrrev_b32_e32 v11, s30, v10
	v_mul_lo_u32 v10, v11, s54
	v_sub_u32_e32 v10, v3, v10
	v_sub_u32_e32 v3, v10, v19
	v_mad_u64_u32 v[2:3], s[4:5], v3, s17, v[2:3]
	v_mul_hi_u32 v3, v11, s57
	v_add_u32_e32 v3, v11, v3
	v_lshrrev_b32_e32 v3, s29, v3
	v_mul_lo_u32 v12, v3, s53
	v_mul_hi_u32 v13, v3, s56
	v_sub_u32_e32 v11, v11, v12
	v_add_u32_e32 v13, v3, v13
	v_sub_u32_e32 v12, v11, v16
	v_lshrrev_b32_e32 v16, s28, v13
	v_sub_u32_e32 v13, v16, v22
	v_mul_lo_u32 v12, v12, s18
	v_mul_lo_u32 v13, v13, s20
	v_add3_u32 v2, v2, v12, v13
	v_mul_lo_u32 v12, v18, s40
	v_sub_u32_e32 v12, v5, v12
	v_sub_u32_e32 v5, v12, v14
	v_mul_lo_u32 v5, v5, s11
	v_add3_u32 v14, v4, v5, v21
	v_mul_lo_u32 v4, v16, s52
	v_sub_u32_e32 v13, v3, v4
	v_sub_u32_e32 v3, v13, v17
	v_mul_lo_u32 v3, v3, s19
	v_add3_u32 v15, v2, v3, v15
	v_lshlrev_b32_e32 v2, 2, v14
	buffer_load_dwordx4 v[2:5], v2, s[0:3], 0 offen
	v_lshlrev_b32_e32 v17, 2, v15
	s_waitcnt vmcnt(0)
	buffer_store_dwordx4 v[2:5], v17, s[36:39], 0 offen
	s_nop 0
	v_or_b32_e32 v3, 3, v1
	v_mul_hi_u32 v1, s51, v3
	v_add_u32_e32 v1, v3, v1
	v_lshrrev_b32_e32 v4, s47, v1
	v_mad_u64_u32 v[1:2], s[4:5], v4, s43, v[6:7]
	v_sub_u32_e32 v3, v3, v1
	v_mul_hi_u32 v1, v4, s50
	v_mul_lo_u32 v3, v3, s8
	v_add_u32_e32 v1, v4, v1
	v_lshrrev_b32_e32 v5, s46, v1
	v_mad_u64_u32 v[1:2], s[4:5], v5, s42, v[7:8]
	v_sub_u32_e32 v4, v4, v1
	v_mul_hi_u32 v1, v5, s49
	v_mul_lo_u32 v4, v4, s9
	;; [unrolled: 6-line block ×3, first 2 shown]
	v_add_u32_e32 v1, v6, v1
	v_lshrrev_b32_e32 v7, s44, v1
	v_mad_u64_u32 v[1:2], s[4:5], v7, s40, v[12:13]
	v_sub_u32_e32 v2, v7, v18
	v_mul_lo_u32 v2, v2, s12
	v_sub_u32_e32 v1, v6, v1
	v_mul_lo_u32 v1, v1, s11
	v_add3_u32 v3, v4, v3, v5
	v_mul_hi_u32 v5, s59, v0
	v_add3_u32 v1, v3, v2, v1
	v_add_lshl_u32 v1, v1, v14, 2
	buffer_load_dwordx4 v[1:4], v1, s[0:3], 0 offen
	v_add_u32_e32 v5, v0, v5
	v_lshrrev_b32_e32 v12, s31, v5
	v_mul_hi_u32 v5, v12, s58
	v_add_u32_e32 v5, v12, v5
	v_lshrrev_b32_e32 v14, s30, v5
	v_mul_hi_u32 v7, v14, s57
	v_mad_u64_u32 v[5:6], s[0:1], v12, s55, v[9:10]
	v_add_u32_e32 v6, v14, v7
	v_lshrrev_b32_e32 v17, s29, v6
	v_mul_hi_u32 v9, v17, s56
	v_mad_u64_u32 v[6:7], s[0:1], v14, s54, v[10:11]
	v_mad_u64_u32 v[7:8], s[0:1], v17, s53, v[11:12]
	v_add_u32_e32 v8, v17, v9
	v_lshrrev_b32_e32 v10, s28, v8
	v_mad_u64_u32 v[8:9], s[0:1], v10, s52, v[13:14]
	v_sub_u32_e32 v0, v0, v5
	v_sub_u32_e32 v5, v12, v6
	;; [unrolled: 1-line block ×5, first 2 shown]
	v_mul_lo_u32 v0, v0, s16
	v_mul_lo_u32 v5, v5, s17
	v_mul_lo_u32 v6, v6, s18
	v_mul_lo_u32 v7, v7, s19
	v_mul_lo_u32 v8, v8, s20
	v_add3_u32 v0, v5, v0, v6
	v_add3_u32 v0, v0, v8, v7
	v_add_lshl_u32 v0, v0, v15, 2
	s_waitcnt vmcnt(0)
	buffer_store_dwordx4 v[1:4], v0, s[36:39], 0 offen
	s_endpgm
	.section	.rodata,"a",@progbits
	.p2align	6, 0x0
	.amdhsa_kernel _Z23DeviceImageToColumnPad0IN2ck7wrapper6TensorILNS0_16AddressSpaceEnumE1EKfNS0_5TupleIJNS5_IJiNS5_IJiiiiEEEEEES6_EEENS0_16TensorDescriptorINS5_IJNS0_5EmbedINS5_IJiiiiiiiiiEEESB_Lb0EEEEEENS5_IJNS0_8SequenceIJLi0EEEEEEENS5_IJNSE_IJLi1ELi2ELi3ELi4ELi5ELi6ELi7ELi8ELi9EEEEEEESH_lEEEENS2_ILS3_1EfS8_SJ_EEKNS5_IJNS0_17integral_constantIiLi32EEENSM_IiLi64EEEEEEKNS1_6LayoutINS5_IJNSM_IiLi8EEENSM_IiLi16EEEEEENS9_INS5_IJNSA_ISU_NS5_IJST_NSM_IiLi1EEEEEELb0EEEEEESG_NS5_IJNSE_IJLi1ELi2EEEEEEESZ_NSM_IlLl128EEEEEEEEvT_T0_T1_T2_
		.amdhsa_group_segment_fixed_size 0
		.amdhsa_private_segment_fixed_size 0
		.amdhsa_kernarg_size 1168
		.amdhsa_user_sgpr_count 6
		.amdhsa_user_sgpr_private_segment_buffer 1
		.amdhsa_user_sgpr_dispatch_ptr 0
		.amdhsa_user_sgpr_queue_ptr 0
		.amdhsa_user_sgpr_kernarg_segment_ptr 1
		.amdhsa_user_sgpr_dispatch_id 0
		.amdhsa_user_sgpr_flat_scratch_init 0
		.amdhsa_user_sgpr_private_segment_size 0
		.amdhsa_uses_dynamic_stack 0
		.amdhsa_system_sgpr_private_segment_wavefront_offset 0
		.amdhsa_system_sgpr_workgroup_id_x 1
		.amdhsa_system_sgpr_workgroup_id_y 1
		.amdhsa_system_sgpr_workgroup_id_z 0
		.amdhsa_system_sgpr_workgroup_info 0
		.amdhsa_system_vgpr_workitem_id 0
		.amdhsa_next_free_vgpr 23
		.amdhsa_next_free_sgpr 60
		.amdhsa_reserve_vcc 0
		.amdhsa_reserve_flat_scratch 0
		.amdhsa_float_round_mode_32 0
		.amdhsa_float_round_mode_16_64 0
		.amdhsa_float_denorm_mode_32 3
		.amdhsa_float_denorm_mode_16_64 3
		.amdhsa_dx10_clamp 1
		.amdhsa_ieee_mode 1
		.amdhsa_fp16_overflow 0
		.amdhsa_exception_fp_ieee_invalid_op 0
		.amdhsa_exception_fp_denorm_src 0
		.amdhsa_exception_fp_ieee_div_zero 0
		.amdhsa_exception_fp_ieee_overflow 0
		.amdhsa_exception_fp_ieee_underflow 0
		.amdhsa_exception_fp_ieee_inexact 0
		.amdhsa_exception_int_div_zero 0
	.end_amdhsa_kernel
	.section	.text._Z23DeviceImageToColumnPad0IN2ck7wrapper6TensorILNS0_16AddressSpaceEnumE1EKfNS0_5TupleIJNS5_IJiNS5_IJiiiiEEEEEES6_EEENS0_16TensorDescriptorINS5_IJNS0_5EmbedINS5_IJiiiiiiiiiEEESB_Lb0EEEEEENS5_IJNS0_8SequenceIJLi0EEEEEEENS5_IJNSE_IJLi1ELi2ELi3ELi4ELi5ELi6ELi7ELi8ELi9EEEEEEESH_lEEEENS2_ILS3_1EfS8_SJ_EEKNS5_IJNS0_17integral_constantIiLi32EEENSM_IiLi64EEEEEEKNS1_6LayoutINS5_IJNSM_IiLi8EEENSM_IiLi16EEEEEENS9_INS5_IJNSA_ISU_NS5_IJST_NSM_IiLi1EEEEEELb0EEEEEESG_NS5_IJNSE_IJLi1ELi2EEEEEEESZ_NSM_IlLl128EEEEEEEEvT_T0_T1_T2_,"axG",@progbits,_Z23DeviceImageToColumnPad0IN2ck7wrapper6TensorILNS0_16AddressSpaceEnumE1EKfNS0_5TupleIJNS5_IJiNS5_IJiiiiEEEEEES6_EEENS0_16TensorDescriptorINS5_IJNS0_5EmbedINS5_IJiiiiiiiiiEEESB_Lb0EEEEEENS5_IJNS0_8SequenceIJLi0EEEEEEENS5_IJNSE_IJLi1ELi2ELi3ELi4ELi5ELi6ELi7ELi8ELi9EEEEEEESH_lEEEENS2_ILS3_1EfS8_SJ_EEKNS5_IJNS0_17integral_constantIiLi32EEENSM_IiLi64EEEEEEKNS1_6LayoutINS5_IJNSM_IiLi8EEENSM_IiLi16EEEEEENS9_INS5_IJNSA_ISU_NS5_IJST_NSM_IiLi1EEEEEELb0EEEEEESG_NS5_IJNSE_IJLi1ELi2EEEEEEESZ_NSM_IlLl128EEEEEEEEvT_T0_T1_T2_,comdat
.Lfunc_end1:
	.size	_Z23DeviceImageToColumnPad0IN2ck7wrapper6TensorILNS0_16AddressSpaceEnumE1EKfNS0_5TupleIJNS5_IJiNS5_IJiiiiEEEEEES6_EEENS0_16TensorDescriptorINS5_IJNS0_5EmbedINS5_IJiiiiiiiiiEEESB_Lb0EEEEEENS5_IJNS0_8SequenceIJLi0EEEEEEENS5_IJNSE_IJLi1ELi2ELi3ELi4ELi5ELi6ELi7ELi8ELi9EEEEEEESH_lEEEENS2_ILS3_1EfS8_SJ_EEKNS5_IJNS0_17integral_constantIiLi32EEENSM_IiLi64EEEEEEKNS1_6LayoutINS5_IJNSM_IiLi8EEENSM_IiLi16EEEEEENS9_INS5_IJNSA_ISU_NS5_IJST_NSM_IiLi1EEEEEELb0EEEEEESG_NS5_IJNSE_IJLi1ELi2EEEEEEESZ_NSM_IlLl128EEEEEEEEvT_T0_T1_T2_, .Lfunc_end1-_Z23DeviceImageToColumnPad0IN2ck7wrapper6TensorILNS0_16AddressSpaceEnumE1EKfNS0_5TupleIJNS5_IJiNS5_IJiiiiEEEEEES6_EEENS0_16TensorDescriptorINS5_IJNS0_5EmbedINS5_IJiiiiiiiiiEEESB_Lb0EEEEEENS5_IJNS0_8SequenceIJLi0EEEEEEENS5_IJNSE_IJLi1ELi2ELi3ELi4ELi5ELi6ELi7ELi8ELi9EEEEEEESH_lEEEENS2_ILS3_1EfS8_SJ_EEKNS5_IJNS0_17integral_constantIiLi32EEENSM_IiLi64EEEEEEKNS1_6LayoutINS5_IJNSM_IiLi8EEENSM_IiLi16EEEEEENS9_INS5_IJNSA_ISU_NS5_IJST_NSM_IiLi1EEEEEELb0EEEEEESG_NS5_IJNSE_IJLi1ELi2EEEEEEESZ_NSM_IlLl128EEEEEEEEvT_T0_T1_T2_
                                        ; -- End function
	.set _Z23DeviceImageToColumnPad0IN2ck7wrapper6TensorILNS0_16AddressSpaceEnumE1EKfNS0_5TupleIJNS5_IJiNS5_IJiiiiEEEEEES6_EEENS0_16TensorDescriptorINS5_IJNS0_5EmbedINS5_IJiiiiiiiiiEEESB_Lb0EEEEEENS5_IJNS0_8SequenceIJLi0EEEEEEENS5_IJNSE_IJLi1ELi2ELi3ELi4ELi5ELi6ELi7ELi8ELi9EEEEEEESH_lEEEENS2_ILS3_1EfS8_SJ_EEKNS5_IJNS0_17integral_constantIiLi32EEENSM_IiLi64EEEEEEKNS1_6LayoutINS5_IJNSM_IiLi8EEENSM_IiLi16EEEEEENS9_INS5_IJNSA_ISU_NS5_IJST_NSM_IiLi1EEEEEELb0EEEEEESG_NS5_IJNSE_IJLi1ELi2EEEEEEESZ_NSM_IlLl128EEEEEEEEvT_T0_T1_T2_.num_vgpr, 23
	.set _Z23DeviceImageToColumnPad0IN2ck7wrapper6TensorILNS0_16AddressSpaceEnumE1EKfNS0_5TupleIJNS5_IJiNS5_IJiiiiEEEEEES6_EEENS0_16TensorDescriptorINS5_IJNS0_5EmbedINS5_IJiiiiiiiiiEEESB_Lb0EEEEEENS5_IJNS0_8SequenceIJLi0EEEEEEENS5_IJNSE_IJLi1ELi2ELi3ELi4ELi5ELi6ELi7ELi8ELi9EEEEEEESH_lEEEENS2_ILS3_1EfS8_SJ_EEKNS5_IJNS0_17integral_constantIiLi32EEENSM_IiLi64EEEEEEKNS1_6LayoutINS5_IJNSM_IiLi8EEENSM_IiLi16EEEEEENS9_INS5_IJNSA_ISU_NS5_IJST_NSM_IiLi1EEEEEELb0EEEEEESG_NS5_IJNSE_IJLi1ELi2EEEEEEESZ_NSM_IlLl128EEEEEEEEvT_T0_T1_T2_.num_agpr, 0
	.set _Z23DeviceImageToColumnPad0IN2ck7wrapper6TensorILNS0_16AddressSpaceEnumE1EKfNS0_5TupleIJNS5_IJiNS5_IJiiiiEEEEEES6_EEENS0_16TensorDescriptorINS5_IJNS0_5EmbedINS5_IJiiiiiiiiiEEESB_Lb0EEEEEENS5_IJNS0_8SequenceIJLi0EEEEEEENS5_IJNSE_IJLi1ELi2ELi3ELi4ELi5ELi6ELi7ELi8ELi9EEEEEEESH_lEEEENS2_ILS3_1EfS8_SJ_EEKNS5_IJNS0_17integral_constantIiLi32EEENSM_IiLi64EEEEEEKNS1_6LayoutINS5_IJNSM_IiLi8EEENSM_IiLi16EEEEEENS9_INS5_IJNSA_ISU_NS5_IJST_NSM_IiLi1EEEEEELb0EEEEEESG_NS5_IJNSE_IJLi1ELi2EEEEEEESZ_NSM_IlLl128EEEEEEEEvT_T0_T1_T2_.numbered_sgpr, 60
	.set _Z23DeviceImageToColumnPad0IN2ck7wrapper6TensorILNS0_16AddressSpaceEnumE1EKfNS0_5TupleIJNS5_IJiNS5_IJiiiiEEEEEES6_EEENS0_16TensorDescriptorINS5_IJNS0_5EmbedINS5_IJiiiiiiiiiEEESB_Lb0EEEEEENS5_IJNS0_8SequenceIJLi0EEEEEEENS5_IJNSE_IJLi1ELi2ELi3ELi4ELi5ELi6ELi7ELi8ELi9EEEEEEESH_lEEEENS2_ILS3_1EfS8_SJ_EEKNS5_IJNS0_17integral_constantIiLi32EEENSM_IiLi64EEEEEEKNS1_6LayoutINS5_IJNSM_IiLi8EEENSM_IiLi16EEEEEENS9_INS5_IJNSA_ISU_NS5_IJST_NSM_IiLi1EEEEEELb0EEEEEESG_NS5_IJNSE_IJLi1ELi2EEEEEEESZ_NSM_IlLl128EEEEEEEEvT_T0_T1_T2_.num_named_barrier, 0
	.set _Z23DeviceImageToColumnPad0IN2ck7wrapper6TensorILNS0_16AddressSpaceEnumE1EKfNS0_5TupleIJNS5_IJiNS5_IJiiiiEEEEEES6_EEENS0_16TensorDescriptorINS5_IJNS0_5EmbedINS5_IJiiiiiiiiiEEESB_Lb0EEEEEENS5_IJNS0_8SequenceIJLi0EEEEEEENS5_IJNSE_IJLi1ELi2ELi3ELi4ELi5ELi6ELi7ELi8ELi9EEEEEEESH_lEEEENS2_ILS3_1EfS8_SJ_EEKNS5_IJNS0_17integral_constantIiLi32EEENSM_IiLi64EEEEEEKNS1_6LayoutINS5_IJNSM_IiLi8EEENSM_IiLi16EEEEEENS9_INS5_IJNSA_ISU_NS5_IJST_NSM_IiLi1EEEEEELb0EEEEEESG_NS5_IJNSE_IJLi1ELi2EEEEEEESZ_NSM_IlLl128EEEEEEEEvT_T0_T1_T2_.private_seg_size, 0
	.set _Z23DeviceImageToColumnPad0IN2ck7wrapper6TensorILNS0_16AddressSpaceEnumE1EKfNS0_5TupleIJNS5_IJiNS5_IJiiiiEEEEEES6_EEENS0_16TensorDescriptorINS5_IJNS0_5EmbedINS5_IJiiiiiiiiiEEESB_Lb0EEEEEENS5_IJNS0_8SequenceIJLi0EEEEEEENS5_IJNSE_IJLi1ELi2ELi3ELi4ELi5ELi6ELi7ELi8ELi9EEEEEEESH_lEEEENS2_ILS3_1EfS8_SJ_EEKNS5_IJNS0_17integral_constantIiLi32EEENSM_IiLi64EEEEEEKNS1_6LayoutINS5_IJNSM_IiLi8EEENSM_IiLi16EEEEEENS9_INS5_IJNSA_ISU_NS5_IJST_NSM_IiLi1EEEEEELb0EEEEEESG_NS5_IJNSE_IJLi1ELi2EEEEEEESZ_NSM_IlLl128EEEEEEEEvT_T0_T1_T2_.uses_vcc, 0
	.set _Z23DeviceImageToColumnPad0IN2ck7wrapper6TensorILNS0_16AddressSpaceEnumE1EKfNS0_5TupleIJNS5_IJiNS5_IJiiiiEEEEEES6_EEENS0_16TensorDescriptorINS5_IJNS0_5EmbedINS5_IJiiiiiiiiiEEESB_Lb0EEEEEENS5_IJNS0_8SequenceIJLi0EEEEEEENS5_IJNSE_IJLi1ELi2ELi3ELi4ELi5ELi6ELi7ELi8ELi9EEEEEEESH_lEEEENS2_ILS3_1EfS8_SJ_EEKNS5_IJNS0_17integral_constantIiLi32EEENSM_IiLi64EEEEEEKNS1_6LayoutINS5_IJNSM_IiLi8EEENSM_IiLi16EEEEEENS9_INS5_IJNSA_ISU_NS5_IJST_NSM_IiLi1EEEEEELb0EEEEEESG_NS5_IJNSE_IJLi1ELi2EEEEEEESZ_NSM_IlLl128EEEEEEEEvT_T0_T1_T2_.uses_flat_scratch, 0
	.set _Z23DeviceImageToColumnPad0IN2ck7wrapper6TensorILNS0_16AddressSpaceEnumE1EKfNS0_5TupleIJNS5_IJiNS5_IJiiiiEEEEEES6_EEENS0_16TensorDescriptorINS5_IJNS0_5EmbedINS5_IJiiiiiiiiiEEESB_Lb0EEEEEENS5_IJNS0_8SequenceIJLi0EEEEEEENS5_IJNSE_IJLi1ELi2ELi3ELi4ELi5ELi6ELi7ELi8ELi9EEEEEEESH_lEEEENS2_ILS3_1EfS8_SJ_EEKNS5_IJNS0_17integral_constantIiLi32EEENSM_IiLi64EEEEEEKNS1_6LayoutINS5_IJNSM_IiLi8EEENSM_IiLi16EEEEEENS9_INS5_IJNSA_ISU_NS5_IJST_NSM_IiLi1EEEEEELb0EEEEEESG_NS5_IJNSE_IJLi1ELi2EEEEEEESZ_NSM_IlLl128EEEEEEEEvT_T0_T1_T2_.has_dyn_sized_stack, 0
	.set _Z23DeviceImageToColumnPad0IN2ck7wrapper6TensorILNS0_16AddressSpaceEnumE1EKfNS0_5TupleIJNS5_IJiNS5_IJiiiiEEEEEES6_EEENS0_16TensorDescriptorINS5_IJNS0_5EmbedINS5_IJiiiiiiiiiEEESB_Lb0EEEEEENS5_IJNS0_8SequenceIJLi0EEEEEEENS5_IJNSE_IJLi1ELi2ELi3ELi4ELi5ELi6ELi7ELi8ELi9EEEEEEESH_lEEEENS2_ILS3_1EfS8_SJ_EEKNS5_IJNS0_17integral_constantIiLi32EEENSM_IiLi64EEEEEEKNS1_6LayoutINS5_IJNSM_IiLi8EEENSM_IiLi16EEEEEENS9_INS5_IJNSA_ISU_NS5_IJST_NSM_IiLi1EEEEEELb0EEEEEESG_NS5_IJNSE_IJLi1ELi2EEEEEEESZ_NSM_IlLl128EEEEEEEEvT_T0_T1_T2_.has_recursion, 0
	.set _Z23DeviceImageToColumnPad0IN2ck7wrapper6TensorILNS0_16AddressSpaceEnumE1EKfNS0_5TupleIJNS5_IJiNS5_IJiiiiEEEEEES6_EEENS0_16TensorDescriptorINS5_IJNS0_5EmbedINS5_IJiiiiiiiiiEEESB_Lb0EEEEEENS5_IJNS0_8SequenceIJLi0EEEEEEENS5_IJNSE_IJLi1ELi2ELi3ELi4ELi5ELi6ELi7ELi8ELi9EEEEEEESH_lEEEENS2_ILS3_1EfS8_SJ_EEKNS5_IJNS0_17integral_constantIiLi32EEENSM_IiLi64EEEEEEKNS1_6LayoutINS5_IJNSM_IiLi8EEENSM_IiLi16EEEEEENS9_INS5_IJNSA_ISU_NS5_IJST_NSM_IiLi1EEEEEELb0EEEEEESG_NS5_IJNSE_IJLi1ELi2EEEEEEESZ_NSM_IlLl128EEEEEEEEvT_T0_T1_T2_.has_indirect_call, 0
	.section	.AMDGPU.csdata,"",@progbits
; Kernel info:
; codeLenInByte = 3068
; TotalNumSgprs: 64
; NumVgprs: 23
; ScratchSize: 0
; MemoryBound: 0
; FloatMode: 240
; IeeeMode: 1
; LDSByteSize: 0 bytes/workgroup (compile time only)
; SGPRBlocks: 7
; VGPRBlocks: 5
; NumSGPRsForWavesPerEU: 64
; NumVGPRsForWavesPerEU: 23
; Occupancy: 10
; WaveLimiterHint : 1
; COMPUTE_PGM_RSRC2:SCRATCH_EN: 0
; COMPUTE_PGM_RSRC2:USER_SGPR: 6
; COMPUTE_PGM_RSRC2:TRAP_HANDLER: 0
; COMPUTE_PGM_RSRC2:TGID_X_EN: 1
; COMPUTE_PGM_RSRC2:TGID_Y_EN: 1
; COMPUTE_PGM_RSRC2:TGID_Z_EN: 0
; COMPUTE_PGM_RSRC2:TIDIG_COMP_CNT: 0
	.section	.AMDGPU.gpr_maximums,"",@progbits
	.set amdgpu.max_num_vgpr, 0
	.set amdgpu.max_num_agpr, 0
	.set amdgpu.max_num_sgpr, 0
	.section	.AMDGPU.csdata,"",@progbits
	.type	__hip_cuid_b826a7bd3ebb42d4,@object ; @__hip_cuid_b826a7bd3ebb42d4
	.section	.bss,"aw",@nobits
	.globl	__hip_cuid_b826a7bd3ebb42d4
__hip_cuid_b826a7bd3ebb42d4:
	.byte	0                               ; 0x0
	.size	__hip_cuid_b826a7bd3ebb42d4, 1

	.ident	"AMD clang version 22.0.0git (https://github.com/RadeonOpenCompute/llvm-project roc-7.2.4 26084 f58b06dce1f9c15707c5f808fd002e18c2accf7e)"
	.section	".note.GNU-stack","",@progbits
	.addrsig
	.addrsig_sym __hip_cuid_b826a7bd3ebb42d4
	.amdgpu_metadata
---
amdhsa.kernels:
  - .args:           []
    .group_segment_fixed_size: 0
    .kernarg_segment_align: 4
    .kernarg_segment_size: 0
    .language:       OpenCL C
    .language_version:
      - 2
      - 0
    .max_flat_workgroup_size: 1024
    .name:           _ZN2ckL12flush_icacheEv
    .private_segment_fixed_size: 0
    .sgpr_count:     4
    .sgpr_spill_count: 0
    .symbol:         _ZN2ckL12flush_icacheEv.kd
    .uniform_work_group_size: 1
    .uses_dynamic_stack: false
    .vgpr_count:     0
    .vgpr_spill_count: 0
    .wavefront_size: 64
  - .args:
      - .offset:         0
        .size:           568
        .value_kind:     by_value
      - .offset:         568
        .size:           568
        .value_kind:     by_value
      - .offset:         1136
        .size:           2
        .value_kind:     by_value
      - .offset:         1138
        .size:           27
        .value_kind:     by_value
    .group_segment_fixed_size: 0
    .kernarg_segment_align: 8
    .kernarg_segment_size: 1168
    .language:       OpenCL C
    .language_version:
      - 2
      - 0
    .max_flat_workgroup_size: 256
    .name:           _Z23DeviceImageToColumnPad0IN2ck7wrapper6TensorILNS0_16AddressSpaceEnumE1EKfNS0_5TupleIJNS5_IJiNS5_IJiiiiEEEEEES6_EEENS0_16TensorDescriptorINS5_IJNS0_5EmbedINS5_IJiiiiiiiiiEEESB_Lb0EEEEEENS5_IJNS0_8SequenceIJLi0EEEEEEENS5_IJNSE_IJLi1ELi2ELi3ELi4ELi5ELi6ELi7ELi8ELi9EEEEEEESH_lEEEENS2_ILS3_1EfS8_SJ_EEKNS5_IJNS0_17integral_constantIiLi32EEENSM_IiLi64EEEEEEKNS1_6LayoutINS5_IJNSM_IiLi8EEENSM_IiLi16EEEEEENS9_INS5_IJNSA_ISU_NS5_IJST_NSM_IiLi1EEEEEELb0EEEEEESG_NS5_IJNSE_IJLi1ELi2EEEEEEESZ_NSM_IlLl128EEEEEEEEvT_T0_T1_T2_
    .private_segment_fixed_size: 0
    .sgpr_count:     64
    .sgpr_spill_count: 0
    .symbol:         _Z23DeviceImageToColumnPad0IN2ck7wrapper6TensorILNS0_16AddressSpaceEnumE1EKfNS0_5TupleIJNS5_IJiNS5_IJiiiiEEEEEES6_EEENS0_16TensorDescriptorINS5_IJNS0_5EmbedINS5_IJiiiiiiiiiEEESB_Lb0EEEEEENS5_IJNS0_8SequenceIJLi0EEEEEEENS5_IJNSE_IJLi1ELi2ELi3ELi4ELi5ELi6ELi7ELi8ELi9EEEEEEESH_lEEEENS2_ILS3_1EfS8_SJ_EEKNS5_IJNS0_17integral_constantIiLi32EEENSM_IiLi64EEEEEEKNS1_6LayoutINS5_IJNSM_IiLi8EEENSM_IiLi16EEEEEENS9_INS5_IJNSA_ISU_NS5_IJST_NSM_IiLi1EEEEEELb0EEEEEESG_NS5_IJNSE_IJLi1ELi2EEEEEEESZ_NSM_IlLl128EEEEEEEEvT_T0_T1_T2_.kd
    .uniform_work_group_size: 1
    .uses_dynamic_stack: false
    .vgpr_count:     23
    .vgpr_spill_count: 0
    .wavefront_size: 64
amdhsa.target:   amdgcn-amd-amdhsa--gfx906
amdhsa.version:
  - 1
  - 2
...

	.end_amdgpu_metadata
